;; amdgpu-corpus repo=zjin-lcf/HeCBench kind=compiled arch=gfx1030 opt=O3
	.amdgcn_target "amdgcn-amd-amdhsa--gfx1030"
	.amdhsa_code_object_version 6
	.text
	.protected	_Z27base_elementwise_add_kernelPK6__halfS1_PS_m ; -- Begin function _Z27base_elementwise_add_kernelPK6__halfS1_PS_m
	.globl	_Z27base_elementwise_add_kernelPK6__halfS1_PS_m
	.p2align	8
	.type	_Z27base_elementwise_add_kernelPK6__halfS1_PS_m,@function
_Z27base_elementwise_add_kernelPK6__halfS1_PS_m: ; @_Z27base_elementwise_add_kernelPK6__halfS1_PS_m
; %bb.0:
	s_clause 0x1
	s_load_dword s2, s[4:5], 0x2c
	s_load_dwordx2 s[0:1], s[4:5], 0x18
	v_mov_b32_e32 v1, 0
	s_waitcnt lgkmcnt(0)
	s_and_b32 s2, s2, 0xffff
	v_mad_u64_u32 v[0:1], null, s2, s6, v[0:1]
	v_cmp_gt_u64_e32 vcc_lo, s[0:1], v[0:1]
	s_and_saveexec_b32 s0, vcc_lo
	s_cbranch_execz .LBB0_2
; %bb.1:
	s_load_dwordx4 s[0:3], s[4:5], 0x0
	v_lshlrev_b64 v[0:1], 1, v[0:1]
	s_load_dwordx2 s[4:5], s[4:5], 0x10
	s_waitcnt lgkmcnt(0)
	v_add_co_u32 v2, vcc_lo, s0, v0
	v_add_co_ci_u32_e64 v3, null, s1, v1, vcc_lo
	v_add_co_u32 v4, vcc_lo, s2, v0
	v_add_co_ci_u32_e64 v5, null, s3, v1, vcc_lo
	global_load_ushort v2, v[2:3], off
	global_load_ushort v3, v[4:5], off
	v_add_co_u32 v0, vcc_lo, s4, v0
	v_add_co_ci_u32_e64 v1, null, s5, v1, vcc_lo
	s_waitcnt vmcnt(0)
	v_add_f16_e32 v2, v2, v3
	global_store_short v[0:1], v2, off
.LBB0_2:
	s_endpgm
	.section	.rodata,"a",@progbits
	.p2align	6, 0x0
	.amdhsa_kernel _Z27base_elementwise_add_kernelPK6__halfS1_PS_m
		.amdhsa_group_segment_fixed_size 0
		.amdhsa_private_segment_fixed_size 0
		.amdhsa_kernarg_size 288
		.amdhsa_user_sgpr_count 6
		.amdhsa_user_sgpr_private_segment_buffer 1
		.amdhsa_user_sgpr_dispatch_ptr 0
		.amdhsa_user_sgpr_queue_ptr 0
		.amdhsa_user_sgpr_kernarg_segment_ptr 1
		.amdhsa_user_sgpr_dispatch_id 0
		.amdhsa_user_sgpr_flat_scratch_init 0
		.amdhsa_user_sgpr_private_segment_size 0
		.amdhsa_wavefront_size32 1
		.amdhsa_uses_dynamic_stack 0
		.amdhsa_system_sgpr_private_segment_wavefront_offset 0
		.amdhsa_system_sgpr_workgroup_id_x 1
		.amdhsa_system_sgpr_workgroup_id_y 0
		.amdhsa_system_sgpr_workgroup_id_z 0
		.amdhsa_system_sgpr_workgroup_info 0
		.amdhsa_system_vgpr_workitem_id 0
		.amdhsa_next_free_vgpr 6
		.amdhsa_next_free_sgpr 7
		.amdhsa_reserve_vcc 1
		.amdhsa_reserve_flat_scratch 0
		.amdhsa_float_round_mode_32 0
		.amdhsa_float_round_mode_16_64 0
		.amdhsa_float_denorm_mode_32 3
		.amdhsa_float_denorm_mode_16_64 3
		.amdhsa_dx10_clamp 1
		.amdhsa_ieee_mode 1
		.amdhsa_fp16_overflow 0
		.amdhsa_workgroup_processor_mode 1
		.amdhsa_memory_ordered 1
		.amdhsa_forward_progress 1
		.amdhsa_shared_vgpr_count 0
		.amdhsa_exception_fp_ieee_invalid_op 0
		.amdhsa_exception_fp_denorm_src 0
		.amdhsa_exception_fp_ieee_div_zero 0
		.amdhsa_exception_fp_ieee_overflow 0
		.amdhsa_exception_fp_ieee_underflow 0
		.amdhsa_exception_fp_ieee_inexact 0
		.amdhsa_exception_int_div_zero 0
	.end_amdhsa_kernel
	.text
.Lfunc_end0:
	.size	_Z27base_elementwise_add_kernelPK6__halfS1_PS_m, .Lfunc_end0-_Z27base_elementwise_add_kernelPK6__halfS1_PS_m
                                        ; -- End function
	.set _Z27base_elementwise_add_kernelPK6__halfS1_PS_m.num_vgpr, 6
	.set _Z27base_elementwise_add_kernelPK6__halfS1_PS_m.num_agpr, 0
	.set _Z27base_elementwise_add_kernelPK6__halfS1_PS_m.numbered_sgpr, 7
	.set _Z27base_elementwise_add_kernelPK6__halfS1_PS_m.num_named_barrier, 0
	.set _Z27base_elementwise_add_kernelPK6__halfS1_PS_m.private_seg_size, 0
	.set _Z27base_elementwise_add_kernelPK6__halfS1_PS_m.uses_vcc, 1
	.set _Z27base_elementwise_add_kernelPK6__halfS1_PS_m.uses_flat_scratch, 0
	.set _Z27base_elementwise_add_kernelPK6__halfS1_PS_m.has_dyn_sized_stack, 0
	.set _Z27base_elementwise_add_kernelPK6__halfS1_PS_m.has_recursion, 0
	.set _Z27base_elementwise_add_kernelPK6__halfS1_PS_m.has_indirect_call, 0
	.section	.AMDGPU.csdata,"",@progbits
; Kernel info:
; codeLenInByte = 168
; TotalNumSgprs: 9
; NumVgprs: 6
; ScratchSize: 0
; MemoryBound: 0
; FloatMode: 240
; IeeeMode: 1
; LDSByteSize: 0 bytes/workgroup (compile time only)
; SGPRBlocks: 0
; VGPRBlocks: 0
; NumSGPRsForWavesPerEU: 9
; NumVGPRsForWavesPerEU: 6
; Occupancy: 16
; WaveLimiterHint : 0
; COMPUTE_PGM_RSRC2:SCRATCH_EN: 0
; COMPUTE_PGM_RSRC2:USER_SGPR: 6
; COMPUTE_PGM_RSRC2:TRAP_HANDLER: 0
; COMPUTE_PGM_RSRC2:TGID_X_EN: 1
; COMPUTE_PGM_RSRC2:TGID_Y_EN: 0
; COMPUTE_PGM_RSRC2:TGID_Z_EN: 0
; COMPUTE_PGM_RSRC2:TIDIG_COMP_CNT: 0
	.text
	.protected	_Z33vectorized_elementwise_add_kernelPK6__halfS1_PS_m ; -- Begin function _Z33vectorized_elementwise_add_kernelPK6__halfS1_PS_m
	.globl	_Z33vectorized_elementwise_add_kernelPK6__halfS1_PS_m
	.p2align	8
	.type	_Z33vectorized_elementwise_add_kernelPK6__halfS1_PS_m,@function
_Z33vectorized_elementwise_add_kernelPK6__halfS1_PS_m: ; @_Z33vectorized_elementwise_add_kernelPK6__halfS1_PS_m
; %bb.0:
	s_clause 0x1
	s_load_dword s0, s[4:5], 0x2c
	s_load_dwordx8 s[8:15], s[4:5], 0x0
	v_mov_b32_e32 v2, 0
	v_lshlrev_b32_e32 v1, 3, v0
	s_lshl_b32 s1, s6, 3
	s_waitcnt lgkmcnt(0)
	s_and_b32 s0, s0, 0xffff
	v_mad_u64_u32 v[1:2], null, s1, s0, v[1:2]
	s_lshr_b32 s1, s6, 29
	v_mad_u64_u32 v[2:3], null, s1, s0, v[2:3]
	v_sub_co_u32 v3, vcc_lo, s14, v1
	s_mov_b32 s1, exec_lo
	v_sub_co_ci_u32_e64 v4, null, s15, v2, vcc_lo
	v_cmpx_lt_u64_e32 7, v[3:4]
	s_xor_b32 s1, exec_lo, s1
	s_cbranch_execz .LBB1_2
; %bb.1:
	v_lshlrev_b64 v[8:9], 1, v[1:2]
	v_add_co_u32 v0, vcc_lo, s8, v8
	v_add_co_ci_u32_e64 v1, null, s9, v9, vcc_lo
	v_add_co_u32 v4, vcc_lo, s10, v8
	v_add_co_ci_u32_e64 v5, null, s11, v9, vcc_lo
	global_load_dwordx4 v[0:3], v[0:1], off
	global_load_dwordx4 v[4:7], v[4:5], off
	s_waitcnt vmcnt(0)
	v_pk_add_f16 v0, v0, v4
	v_add_co_u32 v4, vcc_lo, s12, v8
	v_pk_add_f16 v1, v1, v5
	v_pk_add_f16 v2, v2, v6
	;; [unrolled: 1-line block ×3, first 2 shown]
	v_add_co_ci_u32_e64 v5, null, s13, v9, vcc_lo
	global_store_dwordx4 v[4:5], v[0:3], off
                                        ; implicit-def: $vgpr1_vgpr2
                                        ; implicit-def: $vgpr3_vgpr4
                                        ; implicit-def: $vgpr0
.LBB1_2:
	s_andn2_saveexec_b32 s1, s1
	s_cbranch_execz .LBB1_11
; %bb.3:
	s_mov_b32 s1, exec_lo
	v_cmpx_gt_u64_e64 s[14:15], v[1:2]
	s_cbranch_execz .LBB1_11
; %bb.4:
	s_mov_b32 s2, -1
	s_mov_b32 s1, exec_lo
	v_cmpx_lt_u64_e32 1, v[3:4]
	s_cbranch_execz .LBB1_8
; %bb.5:
	v_lshlrev_b32_e32 v0, 4, v0
	s_mul_hi_u32 s5, s6, s0
	s_mul_i32 s4, s6, s0
	s_and_b32 s2, s14, 1
	s_lshl_b64 s[4:5], s[4:5], 4
	v_sub_co_u32 v3, vcc_lo, v3, s2
	v_add_co_u32 v0, s0, s4, v0
	v_add_co_ci_u32_e64 v10, null, s5, 0, s0
	v_subrev_co_ci_u32_e64 v4, null, 0, v4, vcc_lo
	v_add_co_u32 v5, vcc_lo, s12, v0
	v_add_co_ci_u32_e64 v6, null, s13, v10, vcc_lo
	v_add_co_u32 v7, vcc_lo, s10, v0
	v_add_co_ci_u32_e64 v8, null, s11, v10, vcc_lo
	v_add_co_u32 v9, vcc_lo, s8, v0
	v_mov_b32_e32 v12, v4
	v_add_co_ci_u32_e64 v10, null, s9, v10, vcc_lo
	v_mov_b32_e32 v11, v3
	s_mov_b32 s3, 0
	s_mov_b32 s4, s3
	.p2align	6
.LBB1_6:                                ; =>This Inner Loop Header: Depth=1
	global_load_dword v0, v[9:10], off
	global_load_dword v13, v[7:8], off
	v_add_co_u32 v11, vcc_lo, v11, -2
	v_add_co_ci_u32_e64 v12, null, -1, v12, vcc_lo
	v_add_co_u32 v7, vcc_lo, v7, 4
	v_add_co_ci_u32_e64 v8, null, 0, v8, vcc_lo
	v_add_co_u32 v9, vcc_lo, v9, 4
	v_add_co_ci_u32_e64 v10, null, 0, v10, vcc_lo
	v_cmp_eq_u64_e32 vcc_lo, 0, v[11:12]
	s_or_b32 s4, vcc_lo, s4
	s_waitcnt vmcnt(0)
	v_pk_add_f16 v0, v0, v13
	global_store_dword v[5:6], v0, off
	v_add_co_u32 v5, s0, v5, 4
	v_add_co_ci_u32_e64 v6, null, 0, v6, s0
	s_andn2_b32 exec_lo, exec_lo, s4
	s_cbranch_execnz .LBB1_6
; %bb.7:
	s_or_b32 exec_lo, exec_lo, s4
	s_cmp_lg_u64 s[2:3], 0
	v_or_b32_e32 v2, v2, v4
	v_or_b32_e32 v1, v1, v3
	s_cselect_b32 s0, -1, 0
	s_orn2_b32 s2, s0, exec_lo
.LBB1_8:
	s_or_b32 exec_lo, exec_lo, s1
	s_and_b32 exec_lo, exec_lo, s2
	s_cbranch_execz .LBB1_11
; %bb.9:
	v_lshlrev_b64 v[7:8], 1, v[1:2]
	s_mov_b32 s1, 0
	v_add_co_u32 v3, vcc_lo, s12, v7
	v_add_co_ci_u32_e64 v4, null, s13, v8, vcc_lo
	v_add_co_u32 v5, vcc_lo, s10, v7
	v_add_co_ci_u32_e64 v6, null, s11, v8, vcc_lo
	;; [unrolled: 2-line block ×3, first 2 shown]
	.p2align	6
.LBB1_10:                               ; =>This Inner Loop Header: Depth=1
	global_load_ushort v0, v[7:8], off
	global_load_ushort v9, v[5:6], off
	v_add_co_u32 v1, vcc_lo, v1, 1
	v_add_co_ci_u32_e64 v2, null, 0, v2, vcc_lo
	v_add_co_u32 v5, vcc_lo, v5, 2
	v_add_co_ci_u32_e64 v6, null, 0, v6, vcc_lo
	;; [unrolled: 2-line block ×3, first 2 shown]
	v_cmp_le_u64_e32 vcc_lo, s[14:15], v[1:2]
	s_or_b32 s1, vcc_lo, s1
	s_waitcnt vmcnt(0)
	v_add_f16_e32 v0, v0, v9
	global_store_short v[3:4], v0, off
	v_add_co_u32 v3, s0, v3, 2
	v_add_co_ci_u32_e64 v4, null, 0, v4, s0
	s_andn2_b32 exec_lo, exec_lo, s1
	s_cbranch_execnz .LBB1_10
.LBB1_11:
	s_endpgm
	.section	.rodata,"a",@progbits
	.p2align	6, 0x0
	.amdhsa_kernel _Z33vectorized_elementwise_add_kernelPK6__halfS1_PS_m
		.amdhsa_group_segment_fixed_size 0
		.amdhsa_private_segment_fixed_size 0
		.amdhsa_kernarg_size 288
		.amdhsa_user_sgpr_count 6
		.amdhsa_user_sgpr_private_segment_buffer 1
		.amdhsa_user_sgpr_dispatch_ptr 0
		.amdhsa_user_sgpr_queue_ptr 0
		.amdhsa_user_sgpr_kernarg_segment_ptr 1
		.amdhsa_user_sgpr_dispatch_id 0
		.amdhsa_user_sgpr_flat_scratch_init 0
		.amdhsa_user_sgpr_private_segment_size 0
		.amdhsa_wavefront_size32 1
		.amdhsa_uses_dynamic_stack 0
		.amdhsa_system_sgpr_private_segment_wavefront_offset 0
		.amdhsa_system_sgpr_workgroup_id_x 1
		.amdhsa_system_sgpr_workgroup_id_y 0
		.amdhsa_system_sgpr_workgroup_id_z 0
		.amdhsa_system_sgpr_workgroup_info 0
		.amdhsa_system_vgpr_workitem_id 0
		.amdhsa_next_free_vgpr 14
		.amdhsa_next_free_sgpr 16
		.amdhsa_reserve_vcc 1
		.amdhsa_reserve_flat_scratch 0
		.amdhsa_float_round_mode_32 0
		.amdhsa_float_round_mode_16_64 0
		.amdhsa_float_denorm_mode_32 3
		.amdhsa_float_denorm_mode_16_64 3
		.amdhsa_dx10_clamp 1
		.amdhsa_ieee_mode 1
		.amdhsa_fp16_overflow 0
		.amdhsa_workgroup_processor_mode 1
		.amdhsa_memory_ordered 1
		.amdhsa_forward_progress 1
		.amdhsa_shared_vgpr_count 0
		.amdhsa_exception_fp_ieee_invalid_op 0
		.amdhsa_exception_fp_denorm_src 0
		.amdhsa_exception_fp_ieee_div_zero 0
		.amdhsa_exception_fp_ieee_overflow 0
		.amdhsa_exception_fp_ieee_underflow 0
		.amdhsa_exception_fp_ieee_inexact 0
		.amdhsa_exception_int_div_zero 0
	.end_amdhsa_kernel
	.text
.Lfunc_end1:
	.size	_Z33vectorized_elementwise_add_kernelPK6__halfS1_PS_m, .Lfunc_end1-_Z33vectorized_elementwise_add_kernelPK6__halfS1_PS_m
                                        ; -- End function
	.set _Z33vectorized_elementwise_add_kernelPK6__halfS1_PS_m.num_vgpr, 14
	.set _Z33vectorized_elementwise_add_kernelPK6__halfS1_PS_m.num_agpr, 0
	.set _Z33vectorized_elementwise_add_kernelPK6__halfS1_PS_m.numbered_sgpr, 16
	.set _Z33vectorized_elementwise_add_kernelPK6__halfS1_PS_m.num_named_barrier, 0
	.set _Z33vectorized_elementwise_add_kernelPK6__halfS1_PS_m.private_seg_size, 0
	.set _Z33vectorized_elementwise_add_kernelPK6__halfS1_PS_m.uses_vcc, 1
	.set _Z33vectorized_elementwise_add_kernelPK6__halfS1_PS_m.uses_flat_scratch, 0
	.set _Z33vectorized_elementwise_add_kernelPK6__halfS1_PS_m.has_dyn_sized_stack, 0
	.set _Z33vectorized_elementwise_add_kernelPK6__halfS1_PS_m.has_recursion, 0
	.set _Z33vectorized_elementwise_add_kernelPK6__halfS1_PS_m.has_indirect_call, 0
	.section	.AMDGPU.csdata,"",@progbits
; Kernel info:
; codeLenInByte = 756
; TotalNumSgprs: 18
; NumVgprs: 14
; ScratchSize: 0
; MemoryBound: 0
; FloatMode: 240
; IeeeMode: 1
; LDSByteSize: 0 bytes/workgroup (compile time only)
; SGPRBlocks: 0
; VGPRBlocks: 1
; NumSGPRsForWavesPerEU: 18
; NumVGPRsForWavesPerEU: 14
; Occupancy: 16
; WaveLimiterHint : 0
; COMPUTE_PGM_RSRC2:SCRATCH_EN: 0
; COMPUTE_PGM_RSRC2:USER_SGPR: 6
; COMPUTE_PGM_RSRC2:TRAP_HANDLER: 0
; COMPUTE_PGM_RSRC2:TGID_X_EN: 1
; COMPUTE_PGM_RSRC2:TGID_Y_EN: 0
; COMPUTE_PGM_RSRC2:TGID_Z_EN: 0
; COMPUTE_PGM_RSRC2:TIDIG_COMP_CNT: 0
	.section	.text._Z25tv_elementwise_add_kernelILi512EEvPK6__halfS2_PS0_ii,"axG",@progbits,_Z25tv_elementwise_add_kernelILi512EEvPK6__halfS2_PS0_ii,comdat
	.protected	_Z25tv_elementwise_add_kernelILi512EEvPK6__halfS2_PS0_ii ; -- Begin function _Z25tv_elementwise_add_kernelILi512EEvPK6__halfS2_PS0_ii
	.globl	_Z25tv_elementwise_add_kernelILi512EEvPK6__halfS2_PS0_ii
	.p2align	8
	.type	_Z25tv_elementwise_add_kernelILi512EEvPK6__halfS2_PS0_ii,@function
_Z25tv_elementwise_add_kernelILi512EEvPK6__halfS2_PS0_ii: ; @_Z25tv_elementwise_add_kernelILi512EEvPK6__halfS2_PS0_ii
; %bb.0:
	s_load_dword s8, s[4:5], 0x1c
	v_lshrrev_b32_e32 v1, 3, v0
	v_lshlrev_b32_e32 v0, 3, v0
	s_lshl_b32 s0, s6, 9
	v_and_b32_e32 v1, 0x7c, v1
	v_and_or_b32 v0, 0xf8, v0, s0
	s_clause 0x1
	s_load_dwordx4 s[0:3], s[4:5], 0x0
	s_load_dwordx2 s[4:5], s[4:5], 0x10
	v_lshl_add_u32 v8, s7, 4, v1
	v_ashrrev_i32_e32 v1, 31, v0
	v_or_b32_e32 v4, 1, v8
	v_or_b32_e32 v6, 2, v8
	v_or_b32_e32 v10, 3, v8
	s_waitcnt lgkmcnt(0)
	v_mad_i64_i32 v[2:3], null, v8, s8, v[0:1]
	v_mad_i64_i32 v[4:5], null, v4, s8, v[0:1]
	;; [unrolled: 1-line block ×4, first 2 shown]
	v_lshlrev_b64 v[32:33], 1, v[2:3]
	v_lshlrev_b64 v[34:35], 1, v[4:5]
	;; [unrolled: 1-line block ×4, first 2 shown]
	v_add_co_u32 v2, vcc_lo, s0, v32
	v_add_co_ci_u32_e64 v3, null, s1, v33, vcc_lo
	v_add_co_u32 v4, vcc_lo, s2, v32
	v_add_co_ci_u32_e64 v5, null, s3, v33, vcc_lo
	v_add_co_u32 v8, vcc_lo, s0, v34
	v_add_co_ci_u32_e64 v9, null, s1, v35, vcc_lo
	v_add_co_u32 v12, vcc_lo, s2, v34
	v_add_co_ci_u32_e64 v13, null, s3, v35, vcc_lo
	v_add_co_u32 v16, vcc_lo, s0, v36
	v_add_co_ci_u32_e64 v17, null, s1, v37, vcc_lo
	v_add_co_u32 v20, vcc_lo, s2, v36
	v_add_co_ci_u32_e64 v21, null, s3, v37, vcc_lo
	v_add_co_u32 v24, vcc_lo, s0, v38
	v_add_co_ci_u32_e64 v25, null, s1, v39, vcc_lo
	v_add_co_u32 v28, vcc_lo, s2, v38
	v_add_co_ci_u32_e64 v29, null, s3, v39, vcc_lo
	global_load_dwordx4 v[0:3], v[2:3], off
	global_load_dwordx4 v[4:7], v[4:5], off
	;; [unrolled: 1-line block ×8, first 2 shown]
	v_add_co_u32 v32, vcc_lo, s4, v32
	v_add_co_ci_u32_e64 v33, null, s5, v33, vcc_lo
	v_add_co_u32 v34, vcc_lo, s4, v34
	v_add_co_ci_u32_e64 v35, null, s5, v35, vcc_lo
	;; [unrolled: 2-line block ×4, first 2 shown]
	s_waitcnt vmcnt(6)
	v_pk_add_f16 v0, v0, v4
	v_pk_add_f16 v1, v1, v5
	v_pk_add_f16 v2, v2, v6
	v_pk_add_f16 v3, v3, v7
	s_waitcnt vmcnt(4)
	v_pk_add_f16 v4, v8, v12
	v_pk_add_f16 v5, v9, v13
	v_pk_add_f16 v6, v10, v14
	v_pk_add_f16 v7, v11, v15
	;; [unrolled: 5-line block ×4, first 2 shown]
	global_store_dwordx4 v[32:33], v[0:3], off
	global_store_dwordx4 v[34:35], v[4:7], off
	;; [unrolled: 1-line block ×4, first 2 shown]
	s_endpgm
	.section	.rodata,"a",@progbits
	.p2align	6, 0x0
	.amdhsa_kernel _Z25tv_elementwise_add_kernelILi512EEvPK6__halfS2_PS0_ii
		.amdhsa_group_segment_fixed_size 0
		.amdhsa_private_segment_fixed_size 0
		.amdhsa_kernarg_size 32
		.amdhsa_user_sgpr_count 6
		.amdhsa_user_sgpr_private_segment_buffer 1
		.amdhsa_user_sgpr_dispatch_ptr 0
		.amdhsa_user_sgpr_queue_ptr 0
		.amdhsa_user_sgpr_kernarg_segment_ptr 1
		.amdhsa_user_sgpr_dispatch_id 0
		.amdhsa_user_sgpr_flat_scratch_init 0
		.amdhsa_user_sgpr_private_segment_size 0
		.amdhsa_wavefront_size32 1
		.amdhsa_uses_dynamic_stack 0
		.amdhsa_system_sgpr_private_segment_wavefront_offset 0
		.amdhsa_system_sgpr_workgroup_id_x 1
		.amdhsa_system_sgpr_workgroup_id_y 1
		.amdhsa_system_sgpr_workgroup_id_z 0
		.amdhsa_system_sgpr_workgroup_info 0
		.amdhsa_system_vgpr_workitem_id 0
		.amdhsa_next_free_vgpr 40
		.amdhsa_next_free_sgpr 9
		.amdhsa_reserve_vcc 1
		.amdhsa_reserve_flat_scratch 0
		.amdhsa_float_round_mode_32 0
		.amdhsa_float_round_mode_16_64 0
		.amdhsa_float_denorm_mode_32 3
		.amdhsa_float_denorm_mode_16_64 3
		.amdhsa_dx10_clamp 1
		.amdhsa_ieee_mode 1
		.amdhsa_fp16_overflow 0
		.amdhsa_workgroup_processor_mode 1
		.amdhsa_memory_ordered 1
		.amdhsa_forward_progress 1
		.amdhsa_shared_vgpr_count 0
		.amdhsa_exception_fp_ieee_invalid_op 0
		.amdhsa_exception_fp_denorm_src 0
		.amdhsa_exception_fp_ieee_div_zero 0
		.amdhsa_exception_fp_ieee_overflow 0
		.amdhsa_exception_fp_ieee_underflow 0
		.amdhsa_exception_fp_ieee_inexact 0
		.amdhsa_exception_int_div_zero 0
	.end_amdhsa_kernel
	.section	.text._Z25tv_elementwise_add_kernelILi512EEvPK6__halfS2_PS0_ii,"axG",@progbits,_Z25tv_elementwise_add_kernelILi512EEvPK6__halfS2_PS0_ii,comdat
.Lfunc_end2:
	.size	_Z25tv_elementwise_add_kernelILi512EEvPK6__halfS2_PS0_ii, .Lfunc_end2-_Z25tv_elementwise_add_kernelILi512EEvPK6__halfS2_PS0_ii
                                        ; -- End function
	.set _Z25tv_elementwise_add_kernelILi512EEvPK6__halfS2_PS0_ii.num_vgpr, 40
	.set _Z25tv_elementwise_add_kernelILi512EEvPK6__halfS2_PS0_ii.num_agpr, 0
	.set _Z25tv_elementwise_add_kernelILi512EEvPK6__halfS2_PS0_ii.numbered_sgpr, 9
	.set _Z25tv_elementwise_add_kernelILi512EEvPK6__halfS2_PS0_ii.num_named_barrier, 0
	.set _Z25tv_elementwise_add_kernelILi512EEvPK6__halfS2_PS0_ii.private_seg_size, 0
	.set _Z25tv_elementwise_add_kernelILi512EEvPK6__halfS2_PS0_ii.uses_vcc, 1
	.set _Z25tv_elementwise_add_kernelILi512EEvPK6__halfS2_PS0_ii.uses_flat_scratch, 0
	.set _Z25tv_elementwise_add_kernelILi512EEvPK6__halfS2_PS0_ii.has_dyn_sized_stack, 0
	.set _Z25tv_elementwise_add_kernelILi512EEvPK6__halfS2_PS0_ii.has_recursion, 0
	.set _Z25tv_elementwise_add_kernelILi512EEvPK6__halfS2_PS0_ii.has_indirect_call, 0
	.section	.AMDGPU.csdata,"",@progbits
; Kernel info:
; codeLenInByte = 588
; TotalNumSgprs: 11
; NumVgprs: 40
; ScratchSize: 0
; MemoryBound: 0
; FloatMode: 240
; IeeeMode: 1
; LDSByteSize: 0 bytes/workgroup (compile time only)
; SGPRBlocks: 0
; VGPRBlocks: 4
; NumSGPRsForWavesPerEU: 11
; NumVGPRsForWavesPerEU: 40
; Occupancy: 16
; WaveLimiterHint : 0
; COMPUTE_PGM_RSRC2:SCRATCH_EN: 0
; COMPUTE_PGM_RSRC2:USER_SGPR: 6
; COMPUTE_PGM_RSRC2:TRAP_HANDLER: 0
; COMPUTE_PGM_RSRC2:TGID_X_EN: 1
; COMPUTE_PGM_RSRC2:TGID_Y_EN: 1
; COMPUTE_PGM_RSRC2:TGID_Z_EN: 0
; COMPUTE_PGM_RSRC2:TIDIG_COMP_CNT: 0
	.section	.text._Z25tv_elementwise_add_kernelILi256EEvPK6__halfS2_PS0_ii,"axG",@progbits,_Z25tv_elementwise_add_kernelILi256EEvPK6__halfS2_PS0_ii,comdat
	.protected	_Z25tv_elementwise_add_kernelILi256EEvPK6__halfS2_PS0_ii ; -- Begin function _Z25tv_elementwise_add_kernelILi256EEvPK6__halfS2_PS0_ii
	.globl	_Z25tv_elementwise_add_kernelILi256EEvPK6__halfS2_PS0_ii
	.p2align	8
	.type	_Z25tv_elementwise_add_kernelILi256EEvPK6__halfS2_PS0_ii,@function
_Z25tv_elementwise_add_kernelILi256EEvPK6__halfS2_PS0_ii: ; @_Z25tv_elementwise_add_kernelILi256EEvPK6__halfS2_PS0_ii
; %bb.0:
	s_load_dword s8, s[4:5], 0x1c
	v_lshrrev_b32_e32 v1, 3, v0
	v_lshlrev_b32_e32 v0, 3, v0
	s_lshl_b32 s0, s6, 8
	v_and_b32_e32 v1, 0x7c, v1
	v_and_or_b32 v0, 0xf8, v0, s0
	s_clause 0x1
	s_load_dwordx4 s[0:3], s[4:5], 0x0
	s_load_dwordx2 s[4:5], s[4:5], 0x10
	v_lshl_add_u32 v8, s7, 4, v1
	v_ashrrev_i32_e32 v1, 31, v0
	v_or_b32_e32 v4, 1, v8
	v_or_b32_e32 v6, 2, v8
	;; [unrolled: 1-line block ×3, first 2 shown]
	s_waitcnt lgkmcnt(0)
	v_mad_i64_i32 v[2:3], null, v8, s8, v[0:1]
	v_mad_i64_i32 v[4:5], null, v4, s8, v[0:1]
	v_mad_i64_i32 v[6:7], null, v6, s8, v[0:1]
	v_mad_i64_i32 v[20:21], null, v10, s8, v[0:1]
	v_lshlrev_b64 v[32:33], 1, v[2:3]
	v_lshlrev_b64 v[34:35], 1, v[4:5]
	;; [unrolled: 1-line block ×4, first 2 shown]
	v_add_co_u32 v2, vcc_lo, s0, v32
	v_add_co_ci_u32_e64 v3, null, s1, v33, vcc_lo
	v_add_co_u32 v4, vcc_lo, s2, v32
	v_add_co_ci_u32_e64 v5, null, s3, v33, vcc_lo
	;; [unrolled: 2-line block ×8, first 2 shown]
	global_load_dwordx4 v[0:3], v[2:3], off
	global_load_dwordx4 v[4:7], v[4:5], off
	;; [unrolled: 1-line block ×8, first 2 shown]
	v_add_co_u32 v32, vcc_lo, s4, v32
	v_add_co_ci_u32_e64 v33, null, s5, v33, vcc_lo
	v_add_co_u32 v34, vcc_lo, s4, v34
	v_add_co_ci_u32_e64 v35, null, s5, v35, vcc_lo
	;; [unrolled: 2-line block ×4, first 2 shown]
	s_waitcnt vmcnt(6)
	v_pk_add_f16 v0, v0, v4
	v_pk_add_f16 v1, v1, v5
	v_pk_add_f16 v2, v2, v6
	v_pk_add_f16 v3, v3, v7
	s_waitcnt vmcnt(4)
	v_pk_add_f16 v4, v8, v12
	v_pk_add_f16 v5, v9, v13
	v_pk_add_f16 v6, v10, v14
	v_pk_add_f16 v7, v11, v15
	;; [unrolled: 5-line block ×4, first 2 shown]
	global_store_dwordx4 v[32:33], v[0:3], off
	global_store_dwordx4 v[34:35], v[4:7], off
	;; [unrolled: 1-line block ×4, first 2 shown]
	s_endpgm
	.section	.rodata,"a",@progbits
	.p2align	6, 0x0
	.amdhsa_kernel _Z25tv_elementwise_add_kernelILi256EEvPK6__halfS2_PS0_ii
		.amdhsa_group_segment_fixed_size 0
		.amdhsa_private_segment_fixed_size 0
		.amdhsa_kernarg_size 32
		.amdhsa_user_sgpr_count 6
		.amdhsa_user_sgpr_private_segment_buffer 1
		.amdhsa_user_sgpr_dispatch_ptr 0
		.amdhsa_user_sgpr_queue_ptr 0
		.amdhsa_user_sgpr_kernarg_segment_ptr 1
		.amdhsa_user_sgpr_dispatch_id 0
		.amdhsa_user_sgpr_flat_scratch_init 0
		.amdhsa_user_sgpr_private_segment_size 0
		.amdhsa_wavefront_size32 1
		.amdhsa_uses_dynamic_stack 0
		.amdhsa_system_sgpr_private_segment_wavefront_offset 0
		.amdhsa_system_sgpr_workgroup_id_x 1
		.amdhsa_system_sgpr_workgroup_id_y 1
		.amdhsa_system_sgpr_workgroup_id_z 0
		.amdhsa_system_sgpr_workgroup_info 0
		.amdhsa_system_vgpr_workitem_id 0
		.amdhsa_next_free_vgpr 40
		.amdhsa_next_free_sgpr 9
		.amdhsa_reserve_vcc 1
		.amdhsa_reserve_flat_scratch 0
		.amdhsa_float_round_mode_32 0
		.amdhsa_float_round_mode_16_64 0
		.amdhsa_float_denorm_mode_32 3
		.amdhsa_float_denorm_mode_16_64 3
		.amdhsa_dx10_clamp 1
		.amdhsa_ieee_mode 1
		.amdhsa_fp16_overflow 0
		.amdhsa_workgroup_processor_mode 1
		.amdhsa_memory_ordered 1
		.amdhsa_forward_progress 1
		.amdhsa_shared_vgpr_count 0
		.amdhsa_exception_fp_ieee_invalid_op 0
		.amdhsa_exception_fp_denorm_src 0
		.amdhsa_exception_fp_ieee_div_zero 0
		.amdhsa_exception_fp_ieee_overflow 0
		.amdhsa_exception_fp_ieee_underflow 0
		.amdhsa_exception_fp_ieee_inexact 0
		.amdhsa_exception_int_div_zero 0
	.end_amdhsa_kernel
	.section	.text._Z25tv_elementwise_add_kernelILi256EEvPK6__halfS2_PS0_ii,"axG",@progbits,_Z25tv_elementwise_add_kernelILi256EEvPK6__halfS2_PS0_ii,comdat
.Lfunc_end3:
	.size	_Z25tv_elementwise_add_kernelILi256EEvPK6__halfS2_PS0_ii, .Lfunc_end3-_Z25tv_elementwise_add_kernelILi256EEvPK6__halfS2_PS0_ii
                                        ; -- End function
	.set _Z25tv_elementwise_add_kernelILi256EEvPK6__halfS2_PS0_ii.num_vgpr, 40
	.set _Z25tv_elementwise_add_kernelILi256EEvPK6__halfS2_PS0_ii.num_agpr, 0
	.set _Z25tv_elementwise_add_kernelILi256EEvPK6__halfS2_PS0_ii.numbered_sgpr, 9
	.set _Z25tv_elementwise_add_kernelILi256EEvPK6__halfS2_PS0_ii.num_named_barrier, 0
	.set _Z25tv_elementwise_add_kernelILi256EEvPK6__halfS2_PS0_ii.private_seg_size, 0
	.set _Z25tv_elementwise_add_kernelILi256EEvPK6__halfS2_PS0_ii.uses_vcc, 1
	.set _Z25tv_elementwise_add_kernelILi256EEvPK6__halfS2_PS0_ii.uses_flat_scratch, 0
	.set _Z25tv_elementwise_add_kernelILi256EEvPK6__halfS2_PS0_ii.has_dyn_sized_stack, 0
	.set _Z25tv_elementwise_add_kernelILi256EEvPK6__halfS2_PS0_ii.has_recursion, 0
	.set _Z25tv_elementwise_add_kernelILi256EEvPK6__halfS2_PS0_ii.has_indirect_call, 0
	.section	.AMDGPU.csdata,"",@progbits
; Kernel info:
; codeLenInByte = 588
; TotalNumSgprs: 11
; NumVgprs: 40
; ScratchSize: 0
; MemoryBound: 0
; FloatMode: 240
; IeeeMode: 1
; LDSByteSize: 0 bytes/workgroup (compile time only)
; SGPRBlocks: 0
; VGPRBlocks: 4
; NumSGPRsForWavesPerEU: 11
; NumVGPRsForWavesPerEU: 40
; Occupancy: 16
; WaveLimiterHint : 0
; COMPUTE_PGM_RSRC2:SCRATCH_EN: 0
; COMPUTE_PGM_RSRC2:USER_SGPR: 6
; COMPUTE_PGM_RSRC2:TRAP_HANDLER: 0
; COMPUTE_PGM_RSRC2:TGID_X_EN: 1
; COMPUTE_PGM_RSRC2:TGID_Y_EN: 1
; COMPUTE_PGM_RSRC2:TGID_Z_EN: 0
; COMPUTE_PGM_RSRC2:TIDIG_COMP_CNT: 0
	.text
	.p2alignl 6, 3214868480
	.fill 48, 4, 3214868480
	.section	.AMDGPU.gpr_maximums,"",@progbits
	.set amdgpu.max_num_vgpr, 0
	.set amdgpu.max_num_agpr, 0
	.set amdgpu.max_num_sgpr, 0
	.text
	.type	__hip_cuid_2c50e46e4981c91a,@object ; @__hip_cuid_2c50e46e4981c91a
	.section	.bss,"aw",@nobits
	.globl	__hip_cuid_2c50e46e4981c91a
__hip_cuid_2c50e46e4981c91a:
	.byte	0                               ; 0x0
	.size	__hip_cuid_2c50e46e4981c91a, 1

	.ident	"AMD clang version 22.0.0git (https://github.com/RadeonOpenCompute/llvm-project roc-7.2.4 26084 f58b06dce1f9c15707c5f808fd002e18c2accf7e)"
	.section	".note.GNU-stack","",@progbits
	.addrsig
	.addrsig_sym __hip_cuid_2c50e46e4981c91a
	.amdgpu_metadata
---
amdhsa.kernels:
  - .args:
      - .actual_access:  read_only
        .address_space:  global
        .offset:         0
        .size:           8
        .value_kind:     global_buffer
      - .actual_access:  read_only
        .address_space:  global
        .offset:         8
        .size:           8
        .value_kind:     global_buffer
      - .actual_access:  write_only
        .address_space:  global
        .offset:         16
        .size:           8
        .value_kind:     global_buffer
      - .offset:         24
        .size:           8
        .value_kind:     by_value
      - .offset:         32
        .size:           4
        .value_kind:     hidden_block_count_x
      - .offset:         36
        .size:           4
        .value_kind:     hidden_block_count_y
      - .offset:         40
        .size:           4
        .value_kind:     hidden_block_count_z
      - .offset:         44
        .size:           2
        .value_kind:     hidden_group_size_x
      - .offset:         46
        .size:           2
        .value_kind:     hidden_group_size_y
      - .offset:         48
        .size:           2
        .value_kind:     hidden_group_size_z
      - .offset:         50
        .size:           2
        .value_kind:     hidden_remainder_x
      - .offset:         52
        .size:           2
        .value_kind:     hidden_remainder_y
      - .offset:         54
        .size:           2
        .value_kind:     hidden_remainder_z
      - .offset:         72
        .size:           8
        .value_kind:     hidden_global_offset_x
      - .offset:         80
        .size:           8
        .value_kind:     hidden_global_offset_y
      - .offset:         88
        .size:           8
        .value_kind:     hidden_global_offset_z
      - .offset:         96
        .size:           2
        .value_kind:     hidden_grid_dims
    .group_segment_fixed_size: 0
    .kernarg_segment_align: 8
    .kernarg_segment_size: 288
    .language:       OpenCL C
    .language_version:
      - 2
      - 0
    .max_flat_workgroup_size: 1024
    .name:           _Z27base_elementwise_add_kernelPK6__halfS1_PS_m
    .private_segment_fixed_size: 0
    .sgpr_count:     9
    .sgpr_spill_count: 0
    .symbol:         _Z27base_elementwise_add_kernelPK6__halfS1_PS_m.kd
    .uniform_work_group_size: 1
    .uses_dynamic_stack: false
    .vgpr_count:     6
    .vgpr_spill_count: 0
    .wavefront_size: 32
    .workgroup_processor_mode: 1
  - .args:
      - .actual_access:  read_only
        .address_space:  global
        .offset:         0
        .size:           8
        .value_kind:     global_buffer
      - .actual_access:  read_only
        .address_space:  global
        .offset:         8
        .size:           8
        .value_kind:     global_buffer
      - .actual_access:  write_only
        .address_space:  global
        .offset:         16
        .size:           8
        .value_kind:     global_buffer
      - .offset:         24
        .size:           8
        .value_kind:     by_value
      - .offset:         32
        .size:           4
        .value_kind:     hidden_block_count_x
      - .offset:         36
        .size:           4
        .value_kind:     hidden_block_count_y
      - .offset:         40
        .size:           4
        .value_kind:     hidden_block_count_z
      - .offset:         44
        .size:           2
        .value_kind:     hidden_group_size_x
      - .offset:         46
        .size:           2
        .value_kind:     hidden_group_size_y
      - .offset:         48
        .size:           2
        .value_kind:     hidden_group_size_z
      - .offset:         50
        .size:           2
        .value_kind:     hidden_remainder_x
      - .offset:         52
        .size:           2
        .value_kind:     hidden_remainder_y
      - .offset:         54
        .size:           2
        .value_kind:     hidden_remainder_z
      - .offset:         72
        .size:           8
        .value_kind:     hidden_global_offset_x
      - .offset:         80
        .size:           8
        .value_kind:     hidden_global_offset_y
      - .offset:         88
        .size:           8
        .value_kind:     hidden_global_offset_z
      - .offset:         96
        .size:           2
        .value_kind:     hidden_grid_dims
    .group_segment_fixed_size: 0
    .kernarg_segment_align: 8
    .kernarg_segment_size: 288
    .language:       OpenCL C
    .language_version:
      - 2
      - 0
    .max_flat_workgroup_size: 1024
    .name:           _Z33vectorized_elementwise_add_kernelPK6__halfS1_PS_m
    .private_segment_fixed_size: 0
    .sgpr_count:     18
    .sgpr_spill_count: 0
    .symbol:         _Z33vectorized_elementwise_add_kernelPK6__halfS1_PS_m.kd
    .uniform_work_group_size: 1
    .uses_dynamic_stack: false
    .vgpr_count:     14
    .vgpr_spill_count: 0
    .wavefront_size: 32
    .workgroup_processor_mode: 1
  - .args:
      - .actual_access:  read_only
        .address_space:  global
        .offset:         0
        .size:           8
        .value_kind:     global_buffer
      - .actual_access:  read_only
        .address_space:  global
        .offset:         8
        .size:           8
        .value_kind:     global_buffer
      - .actual_access:  write_only
        .address_space:  global
        .offset:         16
        .size:           8
        .value_kind:     global_buffer
      - .offset:         24
        .size:           4
        .value_kind:     by_value
      - .offset:         28
        .size:           4
        .value_kind:     by_value
    .group_segment_fixed_size: 0
    .kernarg_segment_align: 8
    .kernarg_segment_size: 32
    .language:       OpenCL C
    .language_version:
      - 2
      - 0
    .max_flat_workgroup_size: 1024
    .name:           _Z25tv_elementwise_add_kernelILi512EEvPK6__halfS2_PS0_ii
    .private_segment_fixed_size: 0
    .sgpr_count:     11
    .sgpr_spill_count: 0
    .symbol:         _Z25tv_elementwise_add_kernelILi512EEvPK6__halfS2_PS0_ii.kd
    .uniform_work_group_size: 1
    .uses_dynamic_stack: false
    .vgpr_count:     40
    .vgpr_spill_count: 0
    .wavefront_size: 32
    .workgroup_processor_mode: 1
  - .args:
      - .actual_access:  read_only
        .address_space:  global
        .offset:         0
        .size:           8
        .value_kind:     global_buffer
      - .actual_access:  read_only
        .address_space:  global
        .offset:         8
        .size:           8
        .value_kind:     global_buffer
      - .actual_access:  write_only
        .address_space:  global
        .offset:         16
        .size:           8
        .value_kind:     global_buffer
      - .offset:         24
        .size:           4
        .value_kind:     by_value
      - .offset:         28
        .size:           4
        .value_kind:     by_value
    .group_segment_fixed_size: 0
    .kernarg_segment_align: 8
    .kernarg_segment_size: 32
    .language:       OpenCL C
    .language_version:
      - 2
      - 0
    .max_flat_workgroup_size: 1024
    .name:           _Z25tv_elementwise_add_kernelILi256EEvPK6__halfS2_PS0_ii
    .private_segment_fixed_size: 0
    .sgpr_count:     11
    .sgpr_spill_count: 0
    .symbol:         _Z25tv_elementwise_add_kernelILi256EEvPK6__halfS2_PS0_ii.kd
    .uniform_work_group_size: 1
    .uses_dynamic_stack: false
    .vgpr_count:     40
    .vgpr_spill_count: 0
    .wavefront_size: 32
    .workgroup_processor_mode: 1
amdhsa.target:   amdgcn-amd-amdhsa--gfx1030
amdhsa.version:
  - 1
  - 2
...

	.end_amdgpu_metadata
